;; amdgpu-corpus repo=ROCm/rocFFT kind=compiled arch=gfx1030 opt=O3
	.text
	.amdgcn_target "amdgcn-amd-amdhsa--gfx1030"
	.amdhsa_code_object_version 6
	.protected	fft_rtc_fwd_len600_factors_10_6_10_wgs_60_tpt_60_halfLds_dp_ip_CI_sbrr_dirReg ; -- Begin function fft_rtc_fwd_len600_factors_10_6_10_wgs_60_tpt_60_halfLds_dp_ip_CI_sbrr_dirReg
	.globl	fft_rtc_fwd_len600_factors_10_6_10_wgs_60_tpt_60_halfLds_dp_ip_CI_sbrr_dirReg
	.p2align	8
	.type	fft_rtc_fwd_len600_factors_10_6_10_wgs_60_tpt_60_halfLds_dp_ip_CI_sbrr_dirReg,@function
fft_rtc_fwd_len600_factors_10_6_10_wgs_60_tpt_60_halfLds_dp_ip_CI_sbrr_dirReg: ; @fft_rtc_fwd_len600_factors_10_6_10_wgs_60_tpt_60_halfLds_dp_ip_CI_sbrr_dirReg
; %bb.0:
	s_clause 0x2
	s_load_dwordx2 s[14:15], s[4:5], 0x18
	s_load_dwordx4 s[8:11], s[4:5], 0x0
	s_load_dwordx2 s[12:13], s[4:5], 0x50
	v_mul_u32_u24_e32 v1, 0x445, v0
	v_mov_b32_e32 v3, 0
	v_add_nc_u32_sdwa v5, s6, v1 dst_sel:DWORD dst_unused:UNUSED_PAD src0_sel:DWORD src1_sel:WORD_1
	v_mov_b32_e32 v1, 0
	v_mov_b32_e32 v6, v3
	v_mov_b32_e32 v2, 0
	s_waitcnt lgkmcnt(0)
	s_load_dwordx2 s[2:3], s[14:15], 0x0
	v_cmp_lt_u64_e64 s0, s[10:11], 2
	s_and_b32 vcc_lo, exec_lo, s0
	s_cbranch_vccnz .LBB0_8
; %bb.1:
	s_load_dwordx2 s[0:1], s[4:5], 0x10
	v_mov_b32_e32 v1, 0
	s_add_u32 s6, s14, 8
	v_mov_b32_e32 v2, 0
	s_addc_u32 s7, s15, 0
	s_mov_b64 s[18:19], 1
	s_waitcnt lgkmcnt(0)
	s_add_u32 s16, s0, 8
	s_addc_u32 s17, s1, 0
.LBB0_2:                                ; =>This Inner Loop Header: Depth=1
	s_load_dwordx2 s[20:21], s[16:17], 0x0
                                        ; implicit-def: $vgpr7_vgpr8
	s_mov_b32 s0, exec_lo
	s_waitcnt lgkmcnt(0)
	v_or_b32_e32 v4, s21, v6
	v_cmpx_ne_u64_e32 0, v[3:4]
	s_xor_b32 s1, exec_lo, s0
	s_cbranch_execz .LBB0_4
; %bb.3:                                ;   in Loop: Header=BB0_2 Depth=1
	v_cvt_f32_u32_e32 v4, s20
	v_cvt_f32_u32_e32 v7, s21
	s_sub_u32 s0, 0, s20
	s_subb_u32 s22, 0, s21
	v_fmac_f32_e32 v4, 0x4f800000, v7
	v_rcp_f32_e32 v4, v4
	v_mul_f32_e32 v4, 0x5f7ffffc, v4
	v_mul_f32_e32 v7, 0x2f800000, v4
	v_trunc_f32_e32 v7, v7
	v_fmac_f32_e32 v4, 0xcf800000, v7
	v_cvt_u32_f32_e32 v7, v7
	v_cvt_u32_f32_e32 v4, v4
	v_mul_lo_u32 v8, s0, v7
	v_mul_hi_u32 v9, s0, v4
	v_mul_lo_u32 v10, s22, v4
	v_add_nc_u32_e32 v8, v9, v8
	v_mul_lo_u32 v9, s0, v4
	v_add_nc_u32_e32 v8, v8, v10
	v_mul_hi_u32 v10, v4, v9
	v_mul_lo_u32 v11, v4, v8
	v_mul_hi_u32 v12, v4, v8
	v_mul_hi_u32 v13, v7, v9
	v_mul_lo_u32 v9, v7, v9
	v_mul_hi_u32 v14, v7, v8
	v_mul_lo_u32 v8, v7, v8
	v_add_co_u32 v10, vcc_lo, v10, v11
	v_add_co_ci_u32_e32 v11, vcc_lo, 0, v12, vcc_lo
	v_add_co_u32 v9, vcc_lo, v10, v9
	v_add_co_ci_u32_e32 v9, vcc_lo, v11, v13, vcc_lo
	v_add_co_ci_u32_e32 v10, vcc_lo, 0, v14, vcc_lo
	v_add_co_u32 v8, vcc_lo, v9, v8
	v_add_co_ci_u32_e32 v9, vcc_lo, 0, v10, vcc_lo
	v_add_co_u32 v4, vcc_lo, v4, v8
	v_add_co_ci_u32_e32 v7, vcc_lo, v7, v9, vcc_lo
	v_mul_hi_u32 v8, s0, v4
	v_mul_lo_u32 v10, s22, v4
	v_mul_lo_u32 v9, s0, v7
	v_add_nc_u32_e32 v8, v8, v9
	v_mul_lo_u32 v9, s0, v4
	v_add_nc_u32_e32 v8, v8, v10
	v_mul_hi_u32 v10, v4, v9
	v_mul_lo_u32 v11, v4, v8
	v_mul_hi_u32 v12, v4, v8
	v_mul_hi_u32 v13, v7, v9
	v_mul_lo_u32 v9, v7, v9
	v_mul_hi_u32 v14, v7, v8
	v_mul_lo_u32 v8, v7, v8
	v_add_co_u32 v10, vcc_lo, v10, v11
	v_add_co_ci_u32_e32 v11, vcc_lo, 0, v12, vcc_lo
	v_add_co_u32 v9, vcc_lo, v10, v9
	v_add_co_ci_u32_e32 v9, vcc_lo, v11, v13, vcc_lo
	v_add_co_ci_u32_e32 v10, vcc_lo, 0, v14, vcc_lo
	v_add_co_u32 v8, vcc_lo, v9, v8
	v_add_co_ci_u32_e32 v9, vcc_lo, 0, v10, vcc_lo
	v_add_co_u32 v4, vcc_lo, v4, v8
	v_add_co_ci_u32_e32 v11, vcc_lo, v7, v9, vcc_lo
	v_mul_hi_u32 v13, v5, v4
	v_mad_u64_u32 v[9:10], null, v6, v4, 0
	v_mad_u64_u32 v[7:8], null, v5, v11, 0
	;; [unrolled: 1-line block ×3, first 2 shown]
	v_add_co_u32 v4, vcc_lo, v13, v7
	v_add_co_ci_u32_e32 v7, vcc_lo, 0, v8, vcc_lo
	v_add_co_u32 v4, vcc_lo, v4, v9
	v_add_co_ci_u32_e32 v4, vcc_lo, v7, v10, vcc_lo
	v_add_co_ci_u32_e32 v7, vcc_lo, 0, v12, vcc_lo
	v_add_co_u32 v4, vcc_lo, v4, v11
	v_add_co_ci_u32_e32 v9, vcc_lo, 0, v7, vcc_lo
	v_mul_lo_u32 v10, s21, v4
	v_mad_u64_u32 v[7:8], null, s20, v4, 0
	v_mul_lo_u32 v11, s20, v9
	v_sub_co_u32 v7, vcc_lo, v5, v7
	v_add3_u32 v8, v8, v11, v10
	v_sub_nc_u32_e32 v10, v6, v8
	v_subrev_co_ci_u32_e64 v10, s0, s21, v10, vcc_lo
	v_add_co_u32 v11, s0, v4, 2
	v_add_co_ci_u32_e64 v12, s0, 0, v9, s0
	v_sub_co_u32 v13, s0, v7, s20
	v_sub_co_ci_u32_e32 v8, vcc_lo, v6, v8, vcc_lo
	v_subrev_co_ci_u32_e64 v10, s0, 0, v10, s0
	v_cmp_le_u32_e32 vcc_lo, s20, v13
	v_cmp_eq_u32_e64 s0, s21, v8
	v_cndmask_b32_e64 v13, 0, -1, vcc_lo
	v_cmp_le_u32_e32 vcc_lo, s21, v10
	v_cndmask_b32_e64 v14, 0, -1, vcc_lo
	v_cmp_le_u32_e32 vcc_lo, s20, v7
	;; [unrolled: 2-line block ×3, first 2 shown]
	v_cndmask_b32_e64 v15, 0, -1, vcc_lo
	v_cmp_eq_u32_e32 vcc_lo, s21, v10
	v_cndmask_b32_e64 v7, v15, v7, s0
	v_cndmask_b32_e32 v10, v14, v13, vcc_lo
	v_add_co_u32 v13, vcc_lo, v4, 1
	v_add_co_ci_u32_e32 v14, vcc_lo, 0, v9, vcc_lo
	v_cmp_ne_u32_e32 vcc_lo, 0, v10
	v_cndmask_b32_e32 v8, v14, v12, vcc_lo
	v_cndmask_b32_e32 v10, v13, v11, vcc_lo
	v_cmp_ne_u32_e32 vcc_lo, 0, v7
	v_cndmask_b32_e32 v8, v9, v8, vcc_lo
	v_cndmask_b32_e32 v7, v4, v10, vcc_lo
.LBB0_4:                                ;   in Loop: Header=BB0_2 Depth=1
	s_andn2_saveexec_b32 s0, s1
	s_cbranch_execz .LBB0_6
; %bb.5:                                ;   in Loop: Header=BB0_2 Depth=1
	v_cvt_f32_u32_e32 v4, s20
	s_sub_i32 s1, 0, s20
	v_rcp_iflag_f32_e32 v4, v4
	v_mul_f32_e32 v4, 0x4f7ffffe, v4
	v_cvt_u32_f32_e32 v4, v4
	v_mul_lo_u32 v7, s1, v4
	v_mul_hi_u32 v7, v4, v7
	v_add_nc_u32_e32 v4, v4, v7
	v_mul_hi_u32 v4, v5, v4
	v_mul_lo_u32 v7, v4, s20
	v_add_nc_u32_e32 v8, 1, v4
	v_sub_nc_u32_e32 v7, v5, v7
	v_subrev_nc_u32_e32 v9, s20, v7
	v_cmp_le_u32_e32 vcc_lo, s20, v7
	v_cndmask_b32_e32 v7, v7, v9, vcc_lo
	v_cndmask_b32_e32 v4, v4, v8, vcc_lo
	v_cmp_le_u32_e32 vcc_lo, s20, v7
	v_add_nc_u32_e32 v8, 1, v4
	v_cndmask_b32_e32 v7, v4, v8, vcc_lo
	v_mov_b32_e32 v8, v3
.LBB0_6:                                ;   in Loop: Header=BB0_2 Depth=1
	s_or_b32 exec_lo, exec_lo, s0
	s_load_dwordx2 s[0:1], s[6:7], 0x0
	v_mul_lo_u32 v4, v8, s20
	v_mul_lo_u32 v11, v7, s21
	v_mad_u64_u32 v[9:10], null, v7, s20, 0
	s_add_u32 s18, s18, 1
	s_addc_u32 s19, s19, 0
	s_add_u32 s6, s6, 8
	s_addc_u32 s7, s7, 0
	;; [unrolled: 2-line block ×3, first 2 shown]
	v_add3_u32 v4, v10, v11, v4
	v_sub_co_u32 v5, vcc_lo, v5, v9
	v_sub_co_ci_u32_e32 v4, vcc_lo, v6, v4, vcc_lo
	s_waitcnt lgkmcnt(0)
	v_mul_lo_u32 v6, s1, v5
	v_mul_lo_u32 v4, s0, v4
	v_mad_u64_u32 v[1:2], null, s0, v5, v[1:2]
	v_cmp_ge_u64_e64 s0, s[18:19], s[10:11]
	s_and_b32 vcc_lo, exec_lo, s0
	v_add3_u32 v2, v6, v2, v4
	s_cbranch_vccnz .LBB0_9
; %bb.7:                                ;   in Loop: Header=BB0_2 Depth=1
	v_mov_b32_e32 v5, v7
	v_mov_b32_e32 v6, v8
	s_branch .LBB0_2
.LBB0_8:
	v_mov_b32_e32 v8, v6
	v_mov_b32_e32 v7, v5
.LBB0_9:
	s_lshl_b64 s[0:1], s[10:11], 3
	v_mul_hi_u32 v3, 0x4444445, v0
	s_add_u32 s0, s14, s0
	s_addc_u32 s1, s15, s1
	s_load_dwordx2 s[0:1], s[0:1], 0x0
	s_load_dwordx2 s[4:5], s[4:5], 0x20
	v_mul_u32_u24_e32 v3, 60, v3
	v_sub_nc_u32_e32 v73, v0, v3
	v_add_nc_u32_e32 v76, 60, v73
	s_waitcnt lgkmcnt(0)
	v_mul_lo_u32 v4, s0, v8
	v_mul_lo_u32 v5, s1, v7
	v_mad_u64_u32 v[1:2], null, s0, v7, v[1:2]
	v_cmp_gt_u64_e32 vcc_lo, s[4:5], v[7:8]
	v_cmp_le_u64_e64 s0, s[4:5], v[7:8]
                                        ; implicit-def: $sgpr4
	v_add3_u32 v2, v5, v2, v4
	s_and_saveexec_b32 s1, s0
	s_xor_b32 s0, exec_lo, s1
; %bb.10:
	v_add_nc_u32_e32 v76, 60, v73
	s_mov_b32 s4, 0
; %bb.11:
	s_or_saveexec_b32 s1, s0
	v_lshlrev_b64 v[62:63], 4, v[1:2]
	v_mov_b32_e32 v72, s4
                                        ; implicit-def: $vgpr26_vgpr27
                                        ; implicit-def: $vgpr22_vgpr23
                                        ; implicit-def: $vgpr30_vgpr31
                                        ; implicit-def: $vgpr34_vgpr35
                                        ; implicit-def: $vgpr38_vgpr39
                                        ; implicit-def: $vgpr42_vgpr43
                                        ; implicit-def: $vgpr18_vgpr19
                                        ; implicit-def: $vgpr14_vgpr15
                                        ; implicit-def: $vgpr6_vgpr7
                                        ; implicit-def: $vgpr2_vgpr3
	s_xor_b32 exec_lo, exec_lo, s1
	s_cbranch_execz .LBB0_13
; %bb.12:
	v_add_nc_u32_e32 v10, 0x78, v73
	v_mad_u64_u32 v[0:1], null, s2, v73, 0
	v_mad_u64_u32 v[2:3], null, s2, v76, 0
	;; [unrolled: 1-line block ×3, first 2 shown]
	v_add_nc_u32_e32 v11, 0xb4, v73
	v_add_nc_u32_e32 v13, 0xf0, v73
	v_add_co_u32 v34, s0, s12, v62
	v_mad_u64_u32 v[6:7], null, s3, v73, v[1:2]
	v_mad_u64_u32 v[7:8], null, s3, v76, v[3:4]
	;; [unrolled: 1-line block ×3, first 2 shown]
	v_mov_b32_e32 v3, v5
	v_mad_u64_u32 v[20:21], null, s2, v13, 0
	v_mov_b32_e32 v1, v6
	v_add_co_ci_u32_e64 v35, s0, s13, v63, s0
	v_mad_u64_u32 v[5:6], null, s3, v10, v[3:4]
	v_mov_b32_e32 v6, v9
	v_mov_b32_e32 v3, v7
	v_lshlrev_b64 v[0:1], 4, v[0:1]
	v_add_nc_u32_e32 v14, 0x12c, v73
	v_mov_b32_e32 v12, v21
	v_mad_u64_u32 v[9:10], null, s3, v11, v[6:7]
	v_lshlrev_b64 v[2:3], 4, v[2:3]
	v_add_co_u32 v0, s0, v34, v0
	v_lshlrev_b64 v[10:11], 4, v[4:5]
	v_add_co_ci_u32_e64 v1, s0, v35, v1, s0
	v_mad_u64_u32 v[22:23], null, s2, v14, 0
	v_add_co_u32 v6, s0, v34, v2
	v_lshlrev_b64 v[8:9], 4, v[8:9]
	v_add_co_ci_u32_e64 v7, s0, v35, v3, s0
	v_add_co_u32 v10, s0, v34, v10
	v_mad_u64_u32 v[12:13], null, s3, v13, v[12:13]
	v_add_co_ci_u32_e64 v11, s0, v35, v11, s0
	v_add_co_u32 v8, s0, v34, v8
	v_mov_b32_e32 v13, v23
	v_add_co_ci_u32_e64 v9, s0, v35, v9, s0
	s_clause 0x1
	global_load_dwordx4 v[0:3], v[0:1], off
	global_load_dwordx4 v[4:7], v[6:7], off
	v_mov_b32_e32 v21, v12
	v_mad_u64_u32 v[26:27], null, s3, v14, v[13:14]
	s_clause 0x1
	global_load_dwordx4 v[12:15], v[10:11], off
	global_load_dwordx4 v[16:19], v[8:9], off
	v_add_nc_u32_e32 v29, 0x168, v73
	v_add_nc_u32_e32 v31, 0x1a4, v73
	v_lshlrev_b64 v[9:10], 4, v[20:21]
	v_add_nc_u32_e32 v11, 0x1e0, v73
	v_mov_b32_e32 v72, v73
	v_mad_u64_u32 v[24:25], null, s2, v29, 0
	v_mad_u64_u32 v[27:28], null, s2, v31, 0
	v_mov_b32_e32 v23, v26
	v_add_nc_u32_e32 v26, 0x21c, v73
	v_mov_b32_e32 v8, v25
	v_mad_u64_u32 v[20:21], null, s3, v29, v[8:9]
	v_mov_b32_e32 v8, v28
	v_mad_u64_u32 v[29:30], null, s2, v11, 0
	v_lshlrev_b64 v[21:22], 4, v[22:23]
	v_mad_u64_u32 v[31:32], null, s3, v31, v[8:9]
	v_mad_u64_u32 v[32:33], null, s2, v26, 0
	v_add_co_u32 v8, s0, v34, v9
	v_add_co_ci_u32_e64 v9, s0, v35, v10, s0
	v_mov_b32_e32 v10, v30
	v_mov_b32_e32 v25, v20
	v_add_co_u32 v20, s0, v34, v21
	v_mov_b32_e32 v28, v31
	v_mad_u64_u32 v[10:11], null, s3, v11, v[10:11]
	v_mov_b32_e32 v11, v33
	v_add_co_ci_u32_e64 v21, s0, v35, v22, s0
	v_lshlrev_b64 v[22:23], 4, v[24:25]
	v_mov_b32_e32 v30, v10
	v_add_co_u32 v10, s0, v34, v22
	s_waitcnt vmcnt(1)
	v_mad_u64_u32 v[24:25], null, s3, v26, v[11:12]
	v_lshlrev_b64 v[25:26], 4, v[27:28]
	v_add_co_ci_u32_e64 v11, s0, v35, v23, s0
	v_lshlrev_b64 v[22:23], 4, v[29:30]
	v_mov_b32_e32 v33, v24
	v_add_co_u32 v24, s0, v34, v25
	v_add_co_ci_u32_e64 v25, s0, v35, v26, s0
	v_lshlrev_b64 v[26:27], 4, v[32:33]
	v_add_co_u32 v22, s0, v34, v22
	v_add_co_ci_u32_e64 v23, s0, v35, v23, s0
	v_add_co_u32 v26, s0, v34, v26
	v_add_co_ci_u32_e64 v27, s0, v35, v27, s0
	s_clause 0x5
	global_load_dwordx4 v[40:43], v[8:9], off
	global_load_dwordx4 v[36:39], v[20:21], off
	;; [unrolled: 1-line block ×6, first 2 shown]
.LBB0_13:
	s_or_b32 exec_lo, exec_lo, s1
	s_waitcnt vmcnt(2)
	v_add_f64 v[8:9], v[28:29], v[36:37]
	s_waitcnt vmcnt(0)
	v_add_f64 v[10:11], v[24:25], v[16:17]
	v_add_f64 v[44:45], v[30:31], v[38:39]
	v_add_f64 v[46:47], v[18:19], -v[26:27]
	v_add_f64 v[48:49], v[38:39], -v[30:31]
	v_add_f64 v[50:51], v[26:27], v[18:19]
	s_mov_b32 s6, 0x134454ff
	s_mov_b32 s7, 0x3fee6f0e
	;; [unrolled: 1-line block ×4, first 2 shown]
	v_add_f64 v[54:55], v[16:17], -v[36:37]
	v_add_f64 v[56:57], v[24:25], -v[28:29]
	;; [unrolled: 1-line block ×4, first 2 shown]
	v_add_f64 v[64:65], v[32:33], v[40:41]
	v_add_f64 v[68:69], v[16:17], -v[24:25]
	v_add_f64 v[66:67], v[20:21], v[12:13]
	v_add_f64 v[74:75], v[36:37], -v[28:29]
	s_mov_b32 s14, 0x4755a5e
	s_mov_b32 s15, 0x3fe2cf23
	;; [unrolled: 1-line block ×4, first 2 shown]
	v_fma_f64 v[8:9], v[8:9], -0.5, v[4:5]
	v_fma_f64 v[10:11], v[10:11], -0.5, v[4:5]
	;; [unrolled: 1-line block ×3, first 2 shown]
	v_add_f64 v[70:71], v[18:19], -v[38:39]
	v_add_f64 v[81:82], v[26:27], -v[30:31]
	v_fma_f64 v[50:51], v[50:51], -0.5, v[6:7]
	v_add_f64 v[83:84], v[38:39], -v[18:19]
	v_add_f64 v[85:86], v[30:31], -v[26:27]
	v_add_f64 v[87:88], v[14:15], -v[22:23]
	v_add_f64 v[91:92], v[12:13], v[0:1]
	v_add_f64 v[4:5], v[16:17], v[4:5]
	;; [unrolled: 1-line block ×3, first 2 shown]
	v_add_f64 v[89:90], v[42:43], -v[34:35]
	v_add_f64 v[58:59], v[60:61], v[58:59]
	v_fma_f64 v[54:55], v[64:65], -0.5, v[0:1]
	s_mov_b32 s16, 0x372fe950
	v_fma_f64 v[0:1], v[66:67], -0.5, v[0:1]
	s_mov_b32 s17, 0x3fd3c6ef
	v_add_f64 v[52:53], v[12:13], -v[40:41]
	s_mov_b32 s18, 0x9b97f4a8
	s_mov_b32 s19, 0x3fe9e377
	v_cmp_gt_u32_e64 s0, 40, v73
	v_fma_f64 v[77:78], v[46:47], s[6:7], v[8:9]
	v_fma_f64 v[79:80], v[48:49], s[4:5], v[10:11]
	;; [unrolled: 1-line block ×8, first 2 shown]
	v_add_f64 v[70:71], v[81:82], v[70:71]
	v_add_f64 v[81:82], v[85:86], v[83:84]
	;; [unrolled: 1-line block ×4, first 2 shown]
	v_fma_f64 v[91:92], v[87:88], s[6:7], v[54:55]
	v_fma_f64 v[54:55], v[87:88], s[4:5], v[54:55]
	;; [unrolled: 1-line block ×7, first 2 shown]
	v_add_f64 v[46:47], v[20:21], -v[32:33]
	v_add_f64 v[48:49], v[40:41], -v[12:13]
	v_add_f64 v[79:80], v[32:33], -v[20:21]
	v_fma_f64 v[56:57], v[74:75], s[10:11], v[56:57]
	v_fma_f64 v[44:45], v[74:75], s[14:15], v[44:45]
	;; [unrolled: 1-line block ×4, first 2 shown]
	v_add_f64 v[28:29], v[28:29], v[85:86]
	v_fma_f64 v[64:65], v[16:17], s[16:17], v[60:61]
	v_fma_f64 v[60:61], v[68:69], s[10:11], v[66:67]
	;; [unrolled: 1-line block ×5, first 2 shown]
	v_add_f64 v[8:9], v[46:47], v[52:53]
	v_add_f64 v[10:11], v[79:80], v[48:49]
	v_add_f64 v[46:47], v[32:33], v[83:84]
	v_fma_f64 v[48:49], v[89:90], s[14:15], v[91:92]
	v_fma_f64 v[52:53], v[89:90], s[10:11], v[54:55]
	;; [unrolled: 1-line block ×7, first 2 shown]
	v_add_f64 v[24:25], v[24:25], v[28:29]
	v_mul_f64 v[44:45], v[64:65], s[18:19]
	v_fma_f64 v[68:69], v[81:82], s[16:17], v[60:61]
	v_mul_f64 v[56:57], v[36:37], s[16:17]
	v_mul_f64 v[50:51], v[4:5], s[16:17]
	;; [unrolled: 1-line block ×3, first 2 shown]
	v_add_f64 v[46:47], v[20:21], v[46:47]
	v_fma_f64 v[28:29], v[8:9], s[16:17], v[48:49]
	v_fma_f64 v[74:75], v[8:9], s[16:17], v[52:53]
	;; [unrolled: 1-line block ×6, first 2 shown]
	v_fma_f64 v[79:80], v[70:71], s[6:7], -v[50:51]
	v_fma_f64 v[60:61], v[66:67], s[14:15], -v[60:61]
	v_add_f64 v[48:49], v[24:25], v[46:47]
	v_add_f64 v[54:55], v[46:47], -v[24:25]
	v_mul_u32_u24_e32 v24, 10, v73
	v_lshl_add_u32 v24, v24, 3, 0
	v_mad_i32_i24 v25, 0xffffffb8, v73, v24
	v_add_f64 v[50:51], v[28:29], v[8:9]
	v_add_f64 v[8:9], v[28:29], -v[8:9]
	v_add_f64 v[56:57], v[44:45], v[52:53]
	v_add_f64 v[58:59], v[77:78], v[79:80]
	v_add_f64 v[10:11], v[44:45], -v[52:53]
	v_add_f64 v[52:53], v[74:75], v[60:61]
	v_add_f64 v[44:45], v[77:78], -v[79:80]
	v_add_f64 v[46:47], v[74:75], -v[60:61]
	v_add_nc_u32_e32 v28, 0x400, v25
	v_add_nc_u32_e32 v29, 0x800, v25
	v_lshl_add_u32 v74, v76, 3, 0
	ds_write_b128 v24, v[48:51]
	ds_write_b128 v24, v[56:59] offset:16
	ds_write_b128 v24, v[52:55] offset:32
	;; [unrolled: 1-line block ×4, first 2 shown]
	s_waitcnt lgkmcnt(0)
	s_barrier
	buffer_gl0_inv
	ds_read2_b64 v[50:53], v25 offset1:100
	ds_read2_b64 v[58:61], v28 offset0:72 offset1:172
	ds_read2_b64 v[54:57], v29 offset0:144 offset1:244
	v_mul_i32_i24_e32 v25, 0xffffffb8, v73
                                        ; implicit-def: $vgpr28_vgpr29
                                        ; implicit-def: $vgpr48_vgpr49
	v_add_nc_u32_e32 v75, v24, v25
	s_and_saveexec_b32 s1, s0
	s_cbranch_execz .LBB0_15
; %bb.14:
	v_add_nc_u32_e32 v8, 0x800, v75
	v_add_nc_u32_e32 v9, 0x400, v75
	ds_read2_b64 v[46:49], v8 offset0:104 offset1:204
	ds_read2_b64 v[77:80], v9 offset0:32 offset1:132
	ds_read_b64 v[8:9], v74
	ds_read_b64 v[28:29], v75 offset:4480
	s_waitcnt lgkmcnt(2)
	v_mov_b32_e32 v44, v79
	v_mov_b32_e32 v10, v77
	;; [unrolled: 1-line block ×4, first 2 shown]
.LBB0_15:
	s_or_b32 exec_lo, exec_lo, s1
	v_add_f64 v[77:78], v[34:35], v[42:43]
	v_add_f64 v[79:80], v[22:23], v[14:15]
	;; [unrolled: 1-line block ×3, first 2 shown]
	v_add_f64 v[12:13], v[12:13], -v[20:21]
	v_add_f64 v[6:7], v[18:19], v[6:7]
	v_add_f64 v[18:19], v[40:41], -v[32:33]
	v_add_f64 v[32:33], v[14:15], -v[42:43]
	;; [unrolled: 1-line block ×4, first 2 shown]
	v_mul_f64 v[64:65], v[64:65], s[10:11]
	v_mul_f64 v[36:37], v[36:37], s[4:5]
	;; [unrolled: 1-line block ×4, first 2 shown]
	s_waitcnt lgkmcnt(0)
	s_barrier
	buffer_gl0_inv
	v_fma_f64 v[20:21], v[77:78], -0.5, v[2:3]
	v_fma_f64 v[2:3], v[79:80], -0.5, v[2:3]
	v_add_f64 v[42:43], v[42:43], v[81:82]
	v_add_f64 v[6:7], v[38:39], v[6:7]
	v_add_f64 v[38:39], v[34:35], -v[22:23]
	v_add_f64 v[32:33], v[40:41], v[32:33]
	v_fma_f64 v[40:41], v[16:17], s[18:19], v[64:65]
	v_fma_f64 v[36:37], v[68:69], s[16:17], v[36:37]
	v_fma_f64 v[4:5], v[4:5], s[4:5], -v[70:71]
	v_fma_f64 v[77:78], v[12:13], s[4:5], v[20:21]
	v_fma_f64 v[79:80], v[18:19], s[6:7], v[2:3]
	;; [unrolled: 1-line block ×4, first 2 shown]
	v_add_f64 v[34:35], v[34:35], v[42:43]
	v_add_f64 v[6:7], v[30:31], v[6:7]
	;; [unrolled: 1-line block ×3, first 2 shown]
	v_fma_f64 v[30:31], v[18:19], s[10:11], v[77:78]
	v_fma_f64 v[38:39], v[12:13], s[10:11], v[79:80]
	;; [unrolled: 1-line block ×4, first 2 shown]
	v_add_f64 v[16:17], v[22:23], v[34:35]
	v_add_f64 v[6:7], v[26:27], v[6:7]
	v_fma_f64 v[25:26], v[0:1], s[10:11], -v[66:67]
	v_fma_f64 v[30:31], v[32:33], s[16:17], v[30:31]
	v_fma_f64 v[34:35], v[14:15], s[16:17], v[38:39]
	;; [unrolled: 1-line block ×4, first 2 shown]
	v_add_f64 v[0:1], v[6:7], v[16:17]
	v_add_f64 v[18:19], v[16:17], -v[6:7]
	v_add_f64 v[2:3], v[30:31], v[40:41]
	v_add_f64 v[20:21], v[34:35], v[36:37]
	;; [unrolled: 1-line block ×4, first 2 shown]
	v_add_f64 v[12:13], v[30:31], -v[40:41]
	v_add_f64 v[14:15], v[34:35], -v[36:37]
	;; [unrolled: 1-line block ×4, first 2 shown]
	v_add_nc_u32_e32 v25, 0x400, v75
	v_add_nc_u32_e32 v26, 0x800, v75
	ds_write_b128 v24, v[0:3]
	ds_write_b128 v24, v[20:23] offset:16
	ds_write_b128 v24, v[16:19] offset:32
	;; [unrolled: 1-line block ×4, first 2 shown]
	s_waitcnt lgkmcnt(0)
	s_barrier
	buffer_gl0_inv
	ds_read2_b64 v[0:3], v75 offset1:100
	ds_read2_b64 v[22:25], v25 offset0:72 offset1:172
	ds_read2_b64 v[18:21], v26 offset0:144 offset1:244
                                        ; implicit-def: $vgpr26_vgpr27
                                        ; implicit-def: $vgpr16_vgpr17
	s_and_saveexec_b32 s1, s0
	s_cbranch_execz .LBB0_17
; %bb.16:
	v_add_nc_u32_e32 v4, 0x800, v75
	v_add_nc_u32_e32 v5, 0x400, v75
	ds_read2_b64 v[14:17], v4 offset0:104 offset1:204
	ds_read2_b64 v[30:33], v5 offset0:32 offset1:132
	ds_read_b64 v[12:13], v74
	ds_read_b64 v[26:27], v75 offset:4480
	s_waitcnt lgkmcnt(3)
	v_mov_b32_e32 v6, v14
	v_mov_b32_e32 v7, v15
	s_waitcnt lgkmcnt(2)
	v_mov_b32_e32 v4, v32
	v_mov_b32_e32 v14, v30
	;; [unrolled: 1-line block ×4, first 2 shown]
.LBB0_17:
	s_or_b32 exec_lo, exec_lo, s1
	v_and_b32_e32 v30, 0xff, v73
	v_mov_b32_e32 v31, 5
	v_and_b32_e32 v64, 0xff, v76
	s_mov_b32 s4, 0xe8584caa
	s_mov_b32 s5, 0x3febb67a
	v_mul_lo_u16 v30, 0xcd, v30
	s_mov_b32 s7, 0xbfebb67a
	v_mul_lo_u16 v64, 0xcd, v64
	s_mov_b32 s6, s4
	v_lshrrev_b16 v90, 11, v30
	v_lshrrev_b16 v66, 11, v64
	v_mul_lo_u16 v30, v90, 10
	v_mul_lo_u16 v64, v66, 10
	v_sub_nc_u16 v91, v73, v30
	v_sub_nc_u16 v67, v76, v64
	v_mul_u32_u24_sdwa v30, v91, v31 dst_sel:DWORD dst_unused:UNUSED_PAD src0_sel:BYTE_0 src1_sel:DWORD
	v_mul_u32_u24_sdwa v64, v67, v31 dst_sel:DWORD dst_unused:UNUSED_PAD src0_sel:BYTE_0 src1_sel:DWORD
	v_lshlrev_b32_e32 v30, 4, v30
	s_clause 0x3
	global_load_dwordx4 v[32:35], v30, s[8:9] offset:16
	global_load_dwordx4 v[36:39], v30, s[8:9] offset:32
	global_load_dwordx4 v[40:43], v30, s[8:9] offset:48
	global_load_dwordx4 v[68:71], v30, s[8:9] offset:64
	v_lshlrev_b32_e32 v88, 4, v64
	s_clause 0x2
	global_load_dwordx4 v[76:79], v30, s[8:9]
	global_load_dwordx4 v[84:87], v88, s[8:9]
	global_load_dwordx4 v[80:83], v88, s[8:9] offset:64
	s_waitcnt vmcnt(6) lgkmcnt(1)
	v_mul_f64 v[30:31], v[22:23], v[34:35]
	v_mul_f64 v[34:35], v[58:59], v[34:35]
	s_waitcnt vmcnt(5)
	v_mul_f64 v[64:65], v[24:25], v[38:39]
	v_fma_f64 v[30:31], v[58:59], v[32:33], -v[30:31]
	v_fma_f64 v[32:33], v[22:23], v[32:33], v[34:35]
	v_mul_f64 v[22:23], v[60:61], v[38:39]
	v_fma_f64 v[64:65], v[60:61], v[36:37], -v[64:65]
	global_load_dwordx4 v[58:61], v88, s[8:9] offset:32
	v_fma_f64 v[24:25], v[24:25], v[36:37], v[22:23]
	global_load_dwordx4 v[36:39], v88, s[8:9] offset:16
	s_waitcnt vmcnt(6) lgkmcnt(0)
	v_mul_f64 v[22:23], v[18:19], v[42:43]
	v_mul_f64 v[42:43], v[54:55], v[42:43]
	v_fma_f64 v[34:35], v[54:55], v[40:41], -v[22:23]
	v_fma_f64 v[22:23], v[18:19], v[40:41], v[42:43]
	global_load_dwordx4 v[40:43], v88, s[8:9] offset:48
	s_waitcnt vmcnt(6)
	v_mul_f64 v[18:19], v[20:21], v[70:71]
	s_waitcnt vmcnt(5)
	v_mul_f64 v[54:55], v[2:3], v[78:79]
	s_waitcnt vmcnt(0)
	s_barrier
	buffer_gl0_inv
	v_fma_f64 v[88:89], v[56:57], v[68:69], -v[18:19]
	v_mul_f64 v[18:19], v[56:57], v[70:71]
	v_mul_f64 v[56:57], v[26:27], v[82:83]
	;; [unrolled: 1-line block ×3, first 2 shown]
	v_fma_f64 v[20:21], v[20:21], v[68:69], v[18:19]
	v_mul_f64 v[18:19], v[52:53], v[78:79]
	v_mul_f64 v[68:69], v[28:29], v[82:83]
	v_fma_f64 v[78:79], v[52:53], v[76:77], -v[54:55]
	v_fma_f64 v[52:53], v[28:29], v[80:81], -v[56:57]
	v_add_f64 v[56:57], v[64:65], v[88:89]
	v_fma_f64 v[54:55], v[10:11], v[84:85], -v[70:71]
	v_add_f64 v[28:29], v[24:25], v[20:21]
	v_fma_f64 v[2:3], v[2:3], v[76:77], v[18:19]
	v_mul_f64 v[76:77], v[10:11], v[86:87]
	v_fma_f64 v[18:19], v[26:27], v[80:81], v[68:69]
	v_add_f64 v[70:71], v[24:25], -v[20:21]
	v_fma_f64 v[82:83], v[56:57], -0.5, v[78:79]
	v_fma_f64 v[80:81], v[28:29], -0.5, v[2:3]
	v_fma_f64 v[10:11], v[14:15], v[84:85], v[76:77]
	v_add_f64 v[76:77], v[64:65], -v[88:89]
	v_mul_f64 v[26:27], v[6:7], v[60:61]
	v_mul_f64 v[60:61], v[46:47], v[60:61]
	;; [unrolled: 1-line block ×3, first 2 shown]
	v_fma_f64 v[56:57], v[46:47], v[58:59], -v[26:27]
	v_fma_f64 v[14:15], v[6:7], v[58:59], v[60:61]
	v_mul_f64 v[38:39], v[44:45], v[38:39]
	v_add_f64 v[46:47], v[30:31], v[34:35]
	v_fma_f64 v[26:27], v[76:77], s[6:7], v[80:81]
	v_fma_f64 v[6:7], v[70:71], s[6:7], v[82:83]
	v_add_f64 v[58:59], v[78:79], v[64:65]
	v_fma_f64 v[28:29], v[44:45], v[36:37], -v[68:69]
	v_add_f64 v[44:45], v[32:33], -v[22:23]
	v_add_f64 v[60:61], v[56:57], v[52:53]
	v_fma_f64 v[36:37], v[4:5], v[36:37], v[38:39]
	v_add_f64 v[38:39], v[50:51], v[30:31]
	v_fma_f64 v[46:47], v[46:47], -0.5, v[50:51]
	v_add_f64 v[64:65], v[14:15], v[18:19]
	v_fma_f64 v[50:51], v[70:71], s[4:5], v[82:83]
	v_fma_f64 v[4:5], v[76:77], s[4:5], v[80:81]
	v_mul_f64 v[68:69], v[26:27], s[4:5]
	v_mul_f64 v[70:71], v[6:7], -0.5
	v_mul_f64 v[76:77], v[16:17], v[42:43]
	v_mul_f64 v[42:43], v[48:49], v[42:43]
	v_add_f64 v[78:79], v[14:15], -v[18:19]
	v_add_f64 v[58:59], v[58:59], v[88:89]
	v_add_f64 v[82:83], v[56:57], -v[52:53]
	v_fma_f64 v[60:61], v[60:61], -0.5, v[54:55]
	v_add_f64 v[38:39], v[38:39], v[34:35]
	v_fma_f64 v[80:81], v[44:45], s[4:5], v[46:47]
	v_fma_f64 v[44:45], v[44:45], s[6:7], v[46:47]
	v_fma_f64 v[64:65], v[64:65], -0.5, v[10:11]
	v_fma_f64 v[68:69], v[50:51], 0.5, v[68:69]
	v_fma_f64 v[70:71], v[4:5], s[4:5], v[70:71]
	v_fma_f64 v[46:47], v[48:49], v[40:41], -v[76:77]
	v_fma_f64 v[16:17], v[16:17], v[40:41], v[42:43]
	v_mov_b32_e32 v49, 0x1e0
	v_mul_u32_u24_sdwa v48, v90, v49 dst_sel:DWORD dst_unused:UNUSED_PAD src0_sel:WORD_0 src1_sel:DWORD
	v_fma_f64 v[42:43], v[78:79], s[4:5], v[60:61]
	v_add_f64 v[76:77], v[38:39], v[58:59]
	v_add_f64 v[84:85], v[38:39], -v[58:59]
	v_fma_f64 v[38:39], v[78:79], s[6:7], v[60:61]
	v_fma_f64 v[40:41], v[82:83], s[6:7], v[64:65]
	v_mov_b32_e32 v58, 3
	v_add_f64 v[59:60], v[80:81], v[68:69]
	v_add_f64 v[78:79], v[44:45], v[70:71]
	v_add_f64 v[70:71], v[44:45], -v[70:71]
	v_fma_f64 v[44:45], v[82:83], s[4:5], v[64:65]
	v_add_f64 v[68:69], v[80:81], -v[68:69]
	v_lshlrev_b32_sdwa v61, v58, v91 dst_sel:DWORD dst_unused:UNUSED_PAD src0_sel:DWORD src1_sel:BYTE_0
	v_add3_u32 v48, 0, v48, v61
	ds_write2_b64 v48, v[76:77], v[59:60] offset1:10
	ds_write2_b64 v48, v[78:79], v[84:85] offset0:20 offset1:30
	ds_write2_b64 v48, v[68:69], v[70:71] offset0:40 offset1:50
	s_and_saveexec_b32 s1, s0
	s_cbranch_execz .LBB0_19
; %bb.18:
	v_add_f64 v[59:60], v[28:29], v[46:47]
	v_add_f64 v[64:65], v[36:37], -v[16:17]
	v_mul_f64 v[68:69], v[38:39], -0.5
	v_add_f64 v[70:71], v[8:9], v[28:29]
	v_add_f64 v[54:55], v[54:55], v[56:57]
	v_mul_f64 v[56:57], v[40:41], s[4:5]
	v_mul_u32_u24_sdwa v49, v66, v49 dst_sel:DWORD dst_unused:UNUSED_PAD src0_sel:WORD_0 src1_sel:DWORD
	v_fma_f64 v[8:9], v[59:60], -0.5, v[8:9]
	v_fma_f64 v[59:60], v[44:45], s[4:5], v[68:69]
	v_add_f64 v[68:69], v[70:71], v[46:47]
	v_add_f64 v[52:53], v[54:55], v[52:53]
	v_fma_f64 v[54:55], v[42:43], 0.5, v[56:57]
	v_fma_f64 v[56:57], v[64:65], s[6:7], v[8:9]
	v_fma_f64 v[8:9], v[64:65], s[4:5], v[8:9]
	v_add_f64 v[64:65], v[68:69], -v[52:53]
	v_add_f64 v[52:53], v[68:69], v[52:53]
	v_add_f64 v[68:69], v[56:57], -v[59:60]
	v_add_f64 v[70:71], v[8:9], v[54:55]
	v_add_f64 v[56:57], v[56:57], v[59:60]
	v_add_f64 v[8:9], v[8:9], -v[54:55]
	v_lshlrev_b32_sdwa v54, v58, v67 dst_sel:DWORD dst_unused:UNUSED_PAD src0_sel:DWORD src1_sel:BYTE_0
	v_add3_u32 v49, 0, v49, v54
	ds_write2_b64 v49, v[52:53], v[70:71] offset1:10
	ds_write2_b64 v49, v[56:57], v[64:65] offset0:20 offset1:30
	ds_write2_b64 v49, v[8:9], v[68:69] offset0:40 offset1:50
.LBB0_19:
	s_or_b32 exec_lo, exec_lo, s1
	v_add_f64 v[8:9], v[32:33], v[22:23]
	v_add_f64 v[32:33], v[0:1], v[32:33]
	v_add_f64 v[30:31], v[30:31], -v[34:35]
	v_add_f64 v[2:3], v[2:3], v[24:25]
	v_mul_f64 v[24:25], v[50:51], s[6:7]
	v_mul_f64 v[4:5], v[4:5], -0.5
	v_add_nc_u32_e32 v53, 0x800, v75
	s_waitcnt lgkmcnt(0)
	s_barrier
	buffer_gl0_inv
	v_fma_f64 v[0:1], v[8:9], -0.5, v[0:1]
	v_add_f64 v[8:9], v[32:33], v[22:23]
	v_add_f64 v[32:33], v[2:3], v[20:21]
	v_fma_f64 v[24:25], v[26:27], 0.5, v[24:25]
	v_fma_f64 v[4:5], v[6:7], s[6:7], v[4:5]
	v_fma_f64 v[6:7], v[30:31], s[6:7], v[0:1]
	v_fma_f64 v[26:27], v[30:31], s[4:5], v[0:1]
	ds_read2_b64 v[0:3], v75 offset1:120
	ds_read2_b64 v[20:23], v75 offset0:180 offset1:240
	v_add_f64 v[30:31], v[8:9], v[32:33]
	v_add_f64 v[8:9], v[8:9], -v[32:33]
	v_add_f64 v[32:33], v[6:7], v[24:25]
	v_add_f64 v[34:35], v[26:27], v[4:5]
	v_add_f64 v[49:50], v[6:7], -v[24:25]
	v_add_f64 v[51:52], v[26:27], -v[4:5]
	ds_read_b64 v[60:61], v74
	ds_read_b64 v[64:65], v75 offset:4320
	ds_read2_b64 v[24:27], v53 offset0:44 offset1:104
	ds_read2_b64 v[4:7], v53 offset0:164 offset1:224
	s_waitcnt lgkmcnt(0)
	s_barrier
	buffer_gl0_inv
	ds_write2_b64 v48, v[30:31], v[32:33] offset1:10
	ds_write2_b64 v48, v[34:35], v[8:9] offset0:20 offset1:30
	ds_write2_b64 v48, v[49:50], v[51:52] offset0:40 offset1:50
	s_and_saveexec_b32 s1, s0
	s_cbranch_execz .LBB0_21
; %bb.20:
	v_add_f64 v[8:9], v[36:37], v[16:17]
	s_mov_b32 s4, 0xe8584caa
	s_mov_b32 s5, 0xbfebb67a
	v_add_f64 v[30:31], v[12:13], v[36:37]
	v_add_f64 v[28:29], v[28:29], -v[46:47]
	v_add_f64 v[10:11], v[10:11], v[14:15]
	v_mul_f64 v[32:33], v[42:43], s[4:5]
	v_mul_f64 v[14:15], v[44:45], -0.5
	s_mov_b32 s7, 0x3febb67a
	s_mov_b32 s6, s4
	v_fma_f64 v[8:9], v[8:9], -0.5, v[12:13]
	v_add_f64 v[12:13], v[30:31], v[16:17]
	v_add_f64 v[10:11], v[10:11], v[18:19]
	v_fma_f64 v[16:17], v[40:41], 0.5, v[32:33]
	v_fma_f64 v[14:15], v[38:39], s[4:5], v[14:15]
	v_fma_f64 v[18:19], v[28:29], s[4:5], v[8:9]
	;; [unrolled: 1-line block ×3, first 2 shown]
	v_add_f64 v[28:29], v[12:13], v[10:11]
	v_add_f64 v[10:11], v[12:13], -v[10:11]
	v_add_f64 v[12:13], v[18:19], v[16:17]
	v_add_f64 v[30:31], v[8:9], v[14:15]
	v_add_f64 v[16:17], v[18:19], -v[16:17]
	v_add_f64 v[8:9], v[8:9], -v[14:15]
	v_mov_b32_e32 v14, 0x1e0
	v_mov_b32_e32 v15, 3
	v_mul_u32_u24_sdwa v14, v66, v14 dst_sel:DWORD dst_unused:UNUSED_PAD src0_sel:WORD_0 src1_sel:DWORD
	v_lshlrev_b32_sdwa v15, v15, v67 dst_sel:DWORD dst_unused:UNUSED_PAD src0_sel:DWORD src1_sel:BYTE_0
	v_add3_u32 v14, 0, v14, v15
	ds_write2_b64 v14, v[28:29], v[12:13] offset1:10
	ds_write2_b64 v14, v[30:31], v[10:11] offset0:20 offset1:30
	ds_write2_b64 v14, v[16:17], v[8:9] offset0:40 offset1:50
.LBB0_21:
	s_or_b32 exec_lo, exec_lo, s1
	s_waitcnt lgkmcnt(0)
	s_barrier
	buffer_gl0_inv
	s_and_saveexec_b32 s0, vcc_lo
	s_cbranch_execz .LBB0_23
; %bb.22:
	v_mul_u32_u24_e32 v8, 9, v73
	v_add_nc_u32_e32 v66, 0x800, v75
	v_add_nc_u32_e32 v86, 0xb4, v72
	v_mad_u64_u32 v[76:77], null, s2, v72, 0
	v_lshlrev_b32_e32 v8, 4, v8
	v_add_nc_u32_e32 v71, 60, v72
	v_add_nc_u32_e32 v73, 0x78, v72
	;; [unrolled: 1-line block ×4, first 2 shown]
	s_clause 0x8
	global_load_dwordx4 v[32:35], v8, s[8:9] offset:848
	global_load_dwordx4 v[28:31], v8, s[8:9] offset:832
	;; [unrolled: 1-line block ×9, first 2 shown]
	ds_read2_b64 v[52:55], v75 offset0:180 offset1:240
	ds_read2_b64 v[56:59], v66 offset0:44 offset1:104
	v_add_nc_u32_e32 v89, 0x168, v72
	v_mad_u64_u32 v[80:81], null, s2, v87, 0
	v_mad_u64_u32 v[82:83], null, s2, v88, 0
	;; [unrolled: 1-line block ×3, first 2 shown]
	v_add_nc_u32_e32 v90, 0x1a4, v72
	v_add_nc_u32_e32 v91, 0x1e0, v72
	s_mov_b32 s0, 0x134454ff
	s_mov_b32 s1, 0x3fee6f0e
	;; [unrolled: 1-line block ×10, first 2 shown]
	s_waitcnt vmcnt(8)
	v_mul_f64 v[67:68], v[22:23], v[34:35]
	s_waitcnt lgkmcnt(1)
	v_mul_f64 v[34:35], v[54:55], v[34:35]
	s_waitcnt vmcnt(7)
	v_mul_f64 v[69:70], v[52:53], v[30:31]
	s_waitcnt vmcnt(6)
	v_mul_f64 v[78:79], v[26:27], v[50:51]
	s_waitcnt lgkmcnt(0)
	v_mul_f64 v[50:51], v[58:59], v[50:51]
	v_mul_f64 v[30:31], v[20:21], v[30:31]
	v_fma_f64 v[54:55], v[54:55], v[32:33], v[67:68]
	v_fma_f64 v[32:33], v[22:23], v[32:33], -v[34:35]
	s_waitcnt vmcnt(5)
	v_mul_f64 v[34:35], v[56:57], v[46:47]
	v_mul_f64 v[46:47], v[24:25], v[46:47]
	v_fma_f64 v[20:21], v[20:21], v[28:29], -v[69:70]
	v_mad_u64_u32 v[69:70], null, s2, v86, 0
	v_add_co_u32 v22, vcc_lo, s12, v62
	v_add_co_ci_u32_e32 v23, vcc_lo, s13, v63, vcc_lo
	v_mad_u64_u32 v[62:63], null, s2, v71, 0
	v_mad_u64_u32 v[67:68], null, s2, v73, 0
	v_fma_f64 v[58:59], v[58:59], v[48:49], v[78:79]
	v_fma_f64 v[48:49], v[26:27], v[48:49], -v[50:51]
	v_mov_b32_e32 v26, v77
	v_mov_b32_e32 v27, v70
	v_fma_f64 v[52:53], v[28:29], v[52:53], v[30:31]
	v_mov_b32_e32 v28, v81
	v_mov_b32_e32 v29, v83
	v_mad_u64_u32 v[50:51], null, s2, v90, 0
	v_mad_u64_u32 v[30:31], null, s3, v72, v[26:27]
	v_fma_f64 v[34:35], v[24:25], v[44:45], -v[34:35]
	v_mov_b32_e32 v24, v63
	v_mov_b32_e32 v25, v68
	;; [unrolled: 1-line block ×3, first 2 shown]
	v_fma_f64 v[44:45], v[44:45], v[56:57], v[46:47]
	v_mad_u64_u32 v[78:79], null, s3, v87, v[28:29]
	v_mad_u64_u32 v[46:47], null, s3, v71, v[24:25]
	;; [unrolled: 1-line block ×5, first 2 shown]
	ds_read2_b64 v[24:27], v66 offset0:164 offset1:224
	v_mad_u64_u32 v[86:87], null, s3, v89, v[31:32]
	v_mov_b32_e32 v77, v30
	ds_read2_b64 v[28:31], v75 offset1:120
	v_mov_b32_e32 v47, v51
	v_mov_b32_e32 v68, v56
	v_add_nc_u32_e32 v66, 0x21c, v72
	s_waitcnt vmcnt(4)
	v_mul_f64 v[56:57], v[6:7], v[42:43]
	s_waitcnt vmcnt(3)
	v_mul_f64 v[71:72], v[2:3], v[38:39]
	v_mad_u64_u32 v[87:88], null, s3, v90, v[47:48]
	v_mov_b32_e32 v83, v85
	v_mov_b32_e32 v85, v86
	ds_read_b64 v[73:74], v74
	v_mad_u64_u32 v[88:89], null, s2, v91, 0
	v_mov_b32_e32 v63, v46
	v_mov_b32_e32 v51, v87
	ds_read_b64 v[86:87], v75 offset:4320
	s_waitcnt lgkmcnt(3)
	v_mul_f64 v[42:43], v[26:27], v[42:43]
	v_mov_b32_e32 v81, v78
	v_mad_u64_u32 v[78:79], null, s2, v66, 0
	s_waitcnt lgkmcnt(2)
	v_mul_f64 v[38:39], v[30:31], v[38:39]
	v_mov_b32_e32 v46, v89
	v_add_f64 v[92:93], v[44:45], -v[52:53]
	s_mov_b32 s2, s0
	v_lshlrev_b64 v[82:83], 4, v[82:83]
	v_lshlrev_b64 v[84:85], 4, v[84:85]
	v_fma_f64 v[26:27], v[26:27], v[40:41], v[56:57]
	v_fma_f64 v[30:31], v[30:31], v[36:37], v[71:72]
	v_mad_u64_u32 v[46:47], null, s3, v91, v[46:47]
	v_lshlrev_b64 v[56:57], 4, v[69:70]
	v_add_f64 v[90:91], v[34:35], -v[20:21]
	v_lshlrev_b64 v[50:51], 4, v[50:51]
	v_mov_b32_e32 v89, v46
	v_mov_b32_e32 v46, v79
	v_fma_f64 v[6:7], v[6:7], v[40:41], -v[42:43]
	s_waitcnt vmcnt(2)
	v_mul_f64 v[40:41], v[24:25], v[18:19]
	v_mul_f64 v[18:19], v[4:5], v[18:19]
	v_lshlrev_b64 v[42:43], 4, v[62:63]
	v_fma_f64 v[2:3], v[2:3], v[36:37], -v[38:39]
	s_waitcnt vmcnt(1) lgkmcnt(0)
	v_mul_f64 v[36:37], v[86:87], v[14:15]
	v_mul_f64 v[14:15], v[64:65], v[14:15]
	v_mad_u64_u32 v[46:47], null, s3, v66, v[46:47]
	v_lshlrev_b64 v[38:39], 4, v[76:77]
	v_lshlrev_b64 v[62:63], 4, v[80:81]
	v_add_f64 v[75:76], v[52:53], -v[44:45]
	s_mov_b32 s3, 0xbfee6f0e
	v_lshlrev_b64 v[88:89], 4, v[88:89]
	v_add_co_u32 v66, vcc_lo, v22, v38
	v_mov_b32_e32 v79, v46
	v_lshlrev_b64 v[46:47], 4, v[67:68]
	v_add_co_ci_u32_e32 v67, vcc_lo, v23, v39, vcc_lo
	s_waitcnt vmcnt(0)
	v_mul_f64 v[38:39], v[73:74], v[10:11]
	v_mul_f64 v[10:11], v[60:61], v[10:11]
	v_fma_f64 v[4:5], v[4:5], v[16:17], -v[40:41]
	v_fma_f64 v[16:17], v[16:17], v[24:25], v[18:19]
	v_add_f64 v[24:25], v[30:31], v[26:27]
	v_add_f64 v[40:41], v[2:3], v[6:7]
	v_fma_f64 v[18:19], v[64:65], v[12:13], -v[36:37]
	v_fma_f64 v[12:13], v[12:13], v[86:87], v[14:15]
	v_add_f64 v[14:15], v[54:55], v[58:59]
	v_add_f64 v[36:37], v[32:33], v[48:49]
	v_add_f64 v[64:65], v[20:21], -v[34:35]
	v_add_f64 v[86:87], v[54:55], -v[30:31]
	v_add_co_u32 v68, vcc_lo, v22, v42
	v_add_co_ci_u32_e32 v69, vcc_lo, v23, v43, vcc_lo
	v_add_f64 v[42:43], v[30:31], -v[54:55]
	v_add_co_u32 v46, vcc_lo, v22, v46
	v_add_co_ci_u32_e32 v47, vcc_lo, v23, v47, vcc_lo
	v_add_co_u32 v56, vcc_lo, v22, v56
	v_fma_f64 v[38:39], v[60:61], v[8:9], -v[38:39]
	v_fma_f64 v[8:9], v[8:9], v[73:74], v[10:11]
	v_add_f64 v[10:11], v[30:31], v[28:29]
	v_add_f64 v[72:73], v[0:1], v[2:3]
	v_fma_f64 v[24:25], v[24:25], -0.5, v[28:29]
	v_add_f64 v[70:71], v[18:19], -v[4:5]
	v_add_f64 v[80:81], v[12:13], -v[16:17]
	v_fma_f64 v[14:15], v[14:15], -0.5, v[28:29]
	v_add_f64 v[28:29], v[58:59], -v[26:27]
	v_fma_f64 v[36:37], v[36:37], -0.5, v[0:1]
	v_fma_f64 v[0:1], v[40:41], -0.5, v[0:1]
	v_add_f64 v[40:41], v[4:5], -v[18:19]
	v_add_f64 v[60:61], v[26:27], -v[58:59]
	;; [unrolled: 1-line block ×3, first 2 shown]
	v_add_co_ci_u32_e32 v57, vcc_lo, v23, v57, vcc_lo
	v_add_co_u32 v62, vcc_lo, v22, v62
	v_add_co_ci_u32_e32 v63, vcc_lo, v23, v63, vcc_lo
	v_lshlrev_b64 v[78:79], 4, v[78:79]
	v_add_f64 v[10:11], v[54:55], v[10:11]
	v_add_f64 v[54:55], v[54:55], -v[58:59]
	v_add_f64 v[72:73], v[72:73], v[32:33]
	v_add_f64 v[64:65], v[64:65], v[70:71]
	v_add_f64 v[70:71], v[2:3], -v[32:33]
	v_add_f64 v[74:75], v[75:76], v[80:81]
	v_add_f64 v[76:77], v[6:7], -v[48:49]
	;; [unrolled: 2-line block ×4, first 2 shown]
	v_add_f64 v[90:91], v[34:35], v[4:5]
	v_add_f64 v[42:43], v[42:43], v[60:61]
	v_add_f64 v[60:61], v[16:17], -v[12:13]
	v_add_f64 v[32:33], v[32:33], -v[48:49]
	;; [unrolled: 1-line block ×3, first 2 shown]
	v_add_f64 v[10:11], v[58:59], v[10:11]
	v_add_f64 v[58:59], v[44:45], v[16:17]
	;; [unrolled: 1-line block ×6, first 2 shown]
	v_fma_f64 v[90:91], v[90:91], -0.5, v[38:39]
	v_add_f64 v[60:61], v[92:93], v[60:61]
	v_add_f64 v[20:21], v[20:21], -v[18:19]
	v_add_f64 v[10:11], v[26:27], v[10:11]
	v_fma_f64 v[58:59], v[58:59], -0.5, v[8:9]
	v_fma_f64 v[38:39], v[76:77], -0.5, v[38:39]
	v_add_f64 v[76:77], v[52:53], v[12:13]
	v_add_f64 v[86:87], v[34:35], v[86:87]
	v_add_f64 v[34:35], v[34:35], -v[4:5]
	v_fma_f64 v[94:95], v[20:21], s[0:1], v[58:59]
	v_fma_f64 v[58:59], v[20:21], s[2:3], v[58:59]
	v_fma_f64 v[76:77], v[76:77], -0.5, v[8:9]
	v_add_f64 v[8:9], v[52:53], v[8:9]
	v_add_f64 v[52:53], v[52:53], -v[12:13]
	v_add_f64 v[4:5], v[4:5], v[86:87]
	v_fma_f64 v[92:93], v[34:35], s[2:3], v[76:77]
	v_fma_f64 v[76:77], v[34:35], s[0:1], v[76:77]
	v_add_f64 v[8:9], v[44:45], v[8:9]
	v_add_f64 v[44:45], v[44:45], -v[16:17]
	v_fma_f64 v[96:97], v[52:53], s[2:3], v[90:91]
	v_fma_f64 v[90:91], v[52:53], s[0:1], v[90:91]
	v_add_f64 v[4:5], v[18:19], v[4:5]
	v_fma_f64 v[92:93], v[20:21], s[4:5], v[92:93]
	v_fma_f64 v[20:21], v[20:21], s[6:7], v[76:77]
	v_add_f64 v[8:9], v[16:17], v[8:9]
	;; [unrolled: 3-line block ×3, first 2 shown]
	v_fma_f64 v[20:21], v[60:61], s[8:9], v[20:21]
	v_add_f64 v[8:9], v[12:13], v[8:9]
	v_fma_f64 v[76:77], v[52:53], s[6:7], v[76:77]
	v_fma_f64 v[38:39], v[52:53], s[4:5], v[38:39]
	;; [unrolled: 1-line block ×9, first 2 shown]
	v_add_f64 v[12:13], v[6:7], v[16:17]
	v_add_f64 v[6:7], v[10:11], v[8:9]
	v_fma_f64 v[38:39], v[40:41], s[8:9], v[38:39]
	v_fma_f64 v[52:53], v[74:75], s[8:9], v[52:53]
	;; [unrolled: 1-line block ×14, first 2 shown]
	v_mul_f64 v[26:27], v[38:39], s[2:3]
	v_mul_f64 v[72:73], v[34:35], s[4:5]
	v_fma_f64 v[60:61], v[32:33], s[4:5], v[74:75]
	v_fma_f64 v[14:15], v[32:33], s[6:7], v[14:15]
	v_mul_f64 v[32:33], v[52:53], s[10:11]
	v_mul_f64 v[74:75], v[58:59], s[10:11]
	v_fma_f64 v[24:25], v[30:31], s[6:7], v[64:65]
	v_fma_f64 v[0:1], v[30:31], s[4:5], v[0:1]
	v_mul_f64 v[64:65], v[44:45], s[6:7]
	v_fma_f64 v[30:31], v[54:55], s[6:7], v[76:77]
	v_fma_f64 v[36:37], v[54:55], s[4:5], v[36:37]
	v_mul_f64 v[54:55], v[90:91], s[8:9]
	v_mul_f64 v[76:77], v[20:21], s[0:1]
	;; [unrolled: 1-line block ×3, first 2 shown]
	v_fma_f64 v[48:49], v[28:29], s[8:9], v[48:49]
	v_fma_f64 v[20:21], v[20:21], s[8:9], v[26:27]
	;; [unrolled: 1-line block ×5, first 2 shown]
	v_fma_f64 v[14:15], v[58:59], s[6:7], -v[32:33]
	v_fma_f64 v[92:93], v[80:81], s[8:9], v[24:25]
	v_fma_f64 v[80:81], v[80:81], s[8:9], v[0:1]
	;; [unrolled: 1-line block ×3, first 2 shown]
	v_fma_f64 v[52:53], v[52:53], s[4:5], -v[74:75]
	v_fma_f64 v[32:33], v[70:71], s[8:9], v[36:37]
	v_fma_f64 v[36:37], v[40:41], s[2:3], -v[54:55]
	v_fma_f64 v[40:41], v[44:45], s[10:11], v[72:73]
	v_fma_f64 v[54:55], v[38:39], s[8:9], v[76:77]
	v_fma_f64 v[58:59], v[90:91], s[0:1], -v[86:87]
	v_fma_f64 v[44:45], v[70:71], s[8:9], v[30:31]
	v_add_f64 v[0:1], v[12:13], -v[4:5]
	v_add_f64 v[4:5], v[12:13], v[4:5]
	v_add_f64 v[2:3], v[10:11], -v[8:9]
	v_add_co_u32 v64, vcc_lo, v22, v82
	v_add_co_ci_u32_e32 v65, vcc_lo, v23, v83, vcc_lo
	v_add_co_u32 v70, vcc_lo, v22, v84
	v_add_f64 v[42:43], v[60:61], -v[20:21]
	v_add_co_ci_u32_e32 v71, vcc_lo, v23, v85, vcc_lo
	v_add_f64 v[10:11], v[16:17], -v[14:15]
	v_add_f64 v[14:15], v[16:17], v[14:15]
	v_add_f64 v[26:27], v[28:29], v[34:35]
	v_add_f64 v[30:31], v[28:29], -v[34:35]
	v_add_f64 v[34:35], v[60:61], v[20:21]
	v_add_f64 v[18:19], v[48:49], v[36:37]
	;; [unrolled: 1-line block ×3, first 2 shown]
	v_add_f64 v[28:29], v[32:33], -v[40:41]
	v_add_f64 v[32:33], v[80:81], v[54:55]
	v_add_f64 v[16:17], v[92:93], v[58:59]
	;; [unrolled: 1-line block ×3, first 2 shown]
	v_add_f64 v[40:41], v[80:81], -v[54:55]
	v_add_f64 v[38:39], v[48:49], -v[36:37]
	;; [unrolled: 1-line block ×4, first 2 shown]
	v_add_co_u32 v20, vcc_lo, v22, v50
	v_add_co_ci_u32_e32 v21, vcc_lo, v23, v51, vcc_lo
	v_add_co_u32 v44, vcc_lo, v22, v88
	v_add_co_ci_u32_e32 v45, vcc_lo, v23, v89, vcc_lo
	;; [unrolled: 2-line block ×3, first 2 shown]
	global_store_dwordx4 v[66:67], v[4:7], off
	global_store_dwordx4 v[68:69], v[24:27], off
	;; [unrolled: 1-line block ×10, first 2 shown]
.LBB0_23:
	s_endpgm
	.section	.rodata,"a",@progbits
	.p2align	6, 0x0
	.amdhsa_kernel fft_rtc_fwd_len600_factors_10_6_10_wgs_60_tpt_60_halfLds_dp_ip_CI_sbrr_dirReg
		.amdhsa_group_segment_fixed_size 0
		.amdhsa_private_segment_fixed_size 0
		.amdhsa_kernarg_size 88
		.amdhsa_user_sgpr_count 6
		.amdhsa_user_sgpr_private_segment_buffer 1
		.amdhsa_user_sgpr_dispatch_ptr 0
		.amdhsa_user_sgpr_queue_ptr 0
		.amdhsa_user_sgpr_kernarg_segment_ptr 1
		.amdhsa_user_sgpr_dispatch_id 0
		.amdhsa_user_sgpr_flat_scratch_init 0
		.amdhsa_user_sgpr_private_segment_size 0
		.amdhsa_wavefront_size32 1
		.amdhsa_uses_dynamic_stack 0
		.amdhsa_system_sgpr_private_segment_wavefront_offset 0
		.amdhsa_system_sgpr_workgroup_id_x 1
		.amdhsa_system_sgpr_workgroup_id_y 0
		.amdhsa_system_sgpr_workgroup_id_z 0
		.amdhsa_system_sgpr_workgroup_info 0
		.amdhsa_system_vgpr_workitem_id 0
		.amdhsa_next_free_vgpr 98
		.amdhsa_next_free_sgpr 23
		.amdhsa_reserve_vcc 1
		.amdhsa_reserve_flat_scratch 0
		.amdhsa_float_round_mode_32 0
		.amdhsa_float_round_mode_16_64 0
		.amdhsa_float_denorm_mode_32 3
		.amdhsa_float_denorm_mode_16_64 3
		.amdhsa_dx10_clamp 1
		.amdhsa_ieee_mode 1
		.amdhsa_fp16_overflow 0
		.amdhsa_workgroup_processor_mode 1
		.amdhsa_memory_ordered 1
		.amdhsa_forward_progress 0
		.amdhsa_shared_vgpr_count 0
		.amdhsa_exception_fp_ieee_invalid_op 0
		.amdhsa_exception_fp_denorm_src 0
		.amdhsa_exception_fp_ieee_div_zero 0
		.amdhsa_exception_fp_ieee_overflow 0
		.amdhsa_exception_fp_ieee_underflow 0
		.amdhsa_exception_fp_ieee_inexact 0
		.amdhsa_exception_int_div_zero 0
	.end_amdhsa_kernel
	.text
.Lfunc_end0:
	.size	fft_rtc_fwd_len600_factors_10_6_10_wgs_60_tpt_60_halfLds_dp_ip_CI_sbrr_dirReg, .Lfunc_end0-fft_rtc_fwd_len600_factors_10_6_10_wgs_60_tpt_60_halfLds_dp_ip_CI_sbrr_dirReg
                                        ; -- End function
	.section	.AMDGPU.csdata,"",@progbits
; Kernel info:
; codeLenInByte = 7612
; NumSgprs: 25
; NumVgprs: 98
; ScratchSize: 0
; MemoryBound: 1
; FloatMode: 240
; IeeeMode: 1
; LDSByteSize: 0 bytes/workgroup (compile time only)
; SGPRBlocks: 3
; VGPRBlocks: 12
; NumSGPRsForWavesPerEU: 25
; NumVGPRsForWavesPerEU: 98
; Occupancy: 9
; WaveLimiterHint : 1
; COMPUTE_PGM_RSRC2:SCRATCH_EN: 0
; COMPUTE_PGM_RSRC2:USER_SGPR: 6
; COMPUTE_PGM_RSRC2:TRAP_HANDLER: 0
; COMPUTE_PGM_RSRC2:TGID_X_EN: 1
; COMPUTE_PGM_RSRC2:TGID_Y_EN: 0
; COMPUTE_PGM_RSRC2:TGID_Z_EN: 0
; COMPUTE_PGM_RSRC2:TIDIG_COMP_CNT: 0
	.text
	.p2alignl 6, 3214868480
	.fill 48, 4, 3214868480
	.type	__hip_cuid_8874e1a47d990619,@object ; @__hip_cuid_8874e1a47d990619
	.section	.bss,"aw",@nobits
	.globl	__hip_cuid_8874e1a47d990619
__hip_cuid_8874e1a47d990619:
	.byte	0                               ; 0x0
	.size	__hip_cuid_8874e1a47d990619, 1

	.ident	"AMD clang version 19.0.0git (https://github.com/RadeonOpenCompute/llvm-project roc-6.4.0 25133 c7fe45cf4b819c5991fe208aaa96edf142730f1d)"
	.section	".note.GNU-stack","",@progbits
	.addrsig
	.addrsig_sym __hip_cuid_8874e1a47d990619
	.amdgpu_metadata
---
amdhsa.kernels:
  - .args:
      - .actual_access:  read_only
        .address_space:  global
        .offset:         0
        .size:           8
        .value_kind:     global_buffer
      - .offset:         8
        .size:           8
        .value_kind:     by_value
      - .actual_access:  read_only
        .address_space:  global
        .offset:         16
        .size:           8
        .value_kind:     global_buffer
      - .actual_access:  read_only
        .address_space:  global
        .offset:         24
        .size:           8
        .value_kind:     global_buffer
      - .offset:         32
        .size:           8
        .value_kind:     by_value
      - .actual_access:  read_only
        .address_space:  global
        .offset:         40
        .size:           8
        .value_kind:     global_buffer
      - .actual_access:  read_only
        .address_space:  global
        .offset:         48
        .size:           8
        .value_kind:     global_buffer
      - .offset:         56
        .size:           4
        .value_kind:     by_value
      - .actual_access:  read_only
        .address_space:  global
        .offset:         64
        .size:           8
        .value_kind:     global_buffer
      - .actual_access:  read_only
        .address_space:  global
        .offset:         72
        .size:           8
        .value_kind:     global_buffer
      - .address_space:  global
        .offset:         80
        .size:           8
        .value_kind:     global_buffer
    .group_segment_fixed_size: 0
    .kernarg_segment_align: 8
    .kernarg_segment_size: 88
    .language:       OpenCL C
    .language_version:
      - 2
      - 0
    .max_flat_workgroup_size: 60
    .name:           fft_rtc_fwd_len600_factors_10_6_10_wgs_60_tpt_60_halfLds_dp_ip_CI_sbrr_dirReg
    .private_segment_fixed_size: 0
    .sgpr_count:     25
    .sgpr_spill_count: 0
    .symbol:         fft_rtc_fwd_len600_factors_10_6_10_wgs_60_tpt_60_halfLds_dp_ip_CI_sbrr_dirReg.kd
    .uniform_work_group_size: 1
    .uses_dynamic_stack: false
    .vgpr_count:     98
    .vgpr_spill_count: 0
    .wavefront_size: 32
    .workgroup_processor_mode: 1
amdhsa.target:   amdgcn-amd-amdhsa--gfx1030
amdhsa.version:
  - 1
  - 2
...

	.end_amdgpu_metadata
